;; amdgpu-corpus repo=ROCm/rocFFT kind=compiled arch=gfx1030 opt=O3
	.text
	.amdgcn_target "amdgcn-amd-amdhsa--gfx1030"
	.amdhsa_code_object_version 6
	.protected	fft_rtc_back_len1800_factors_10_6_10_3_wgs_180_tpt_180_halfLds_half_ip_CI_unitstride_sbrr_dirReg ; -- Begin function fft_rtc_back_len1800_factors_10_6_10_3_wgs_180_tpt_180_halfLds_half_ip_CI_unitstride_sbrr_dirReg
	.globl	fft_rtc_back_len1800_factors_10_6_10_3_wgs_180_tpt_180_halfLds_half_ip_CI_unitstride_sbrr_dirReg
	.p2align	8
	.type	fft_rtc_back_len1800_factors_10_6_10_3_wgs_180_tpt_180_halfLds_half_ip_CI_unitstride_sbrr_dirReg,@function
fft_rtc_back_len1800_factors_10_6_10_3_wgs_180_tpt_180_halfLds_half_ip_CI_unitstride_sbrr_dirReg: ; @fft_rtc_back_len1800_factors_10_6_10_3_wgs_180_tpt_180_halfLds_half_ip_CI_unitstride_sbrr_dirReg
; %bb.0:
	s_clause 0x2
	s_load_dwordx4 s[8:11], s[4:5], 0x0
	s_load_dwordx2 s[2:3], s[4:5], 0x50
	s_load_dwordx2 s[12:13], s[4:5], 0x18
	v_mul_u32_u24_e32 v1, 0x16d, v0
	v_mov_b32_e32 v3, 0
	v_add_nc_u32_sdwa v5, s6, v1 dst_sel:DWORD dst_unused:UNUSED_PAD src0_sel:DWORD src1_sel:WORD_1
	v_mov_b32_e32 v1, 0
	v_mov_b32_e32 v6, v3
	v_mov_b32_e32 v2, 0
	s_waitcnt lgkmcnt(0)
	v_cmp_lt_u64_e64 s0, s[10:11], 2
	s_and_b32 vcc_lo, exec_lo, s0
	s_cbranch_vccnz .LBB0_8
; %bb.1:
	s_load_dwordx2 s[0:1], s[4:5], 0x10
	v_mov_b32_e32 v1, 0
	s_add_u32 s6, s12, 8
	v_mov_b32_e32 v2, 0
	s_addc_u32 s7, s13, 0
	s_mov_b64 s[16:17], 1
	s_waitcnt lgkmcnt(0)
	s_add_u32 s14, s0, 8
	s_addc_u32 s15, s1, 0
.LBB0_2:                                ; =>This Inner Loop Header: Depth=1
	s_load_dwordx2 s[18:19], s[14:15], 0x0
                                        ; implicit-def: $vgpr7_vgpr8
	s_mov_b32 s0, exec_lo
	s_waitcnt lgkmcnt(0)
	v_or_b32_e32 v4, s19, v6
	v_cmpx_ne_u64_e32 0, v[3:4]
	s_xor_b32 s1, exec_lo, s0
	s_cbranch_execz .LBB0_4
; %bb.3:                                ;   in Loop: Header=BB0_2 Depth=1
	v_cvt_f32_u32_e32 v4, s18
	v_cvt_f32_u32_e32 v7, s19
	s_sub_u32 s0, 0, s18
	s_subb_u32 s20, 0, s19
	v_fmac_f32_e32 v4, 0x4f800000, v7
	v_rcp_f32_e32 v4, v4
	v_mul_f32_e32 v4, 0x5f7ffffc, v4
	v_mul_f32_e32 v7, 0x2f800000, v4
	v_trunc_f32_e32 v7, v7
	v_fmac_f32_e32 v4, 0xcf800000, v7
	v_cvt_u32_f32_e32 v7, v7
	v_cvt_u32_f32_e32 v4, v4
	v_mul_lo_u32 v8, s0, v7
	v_mul_hi_u32 v9, s0, v4
	v_mul_lo_u32 v10, s20, v4
	v_add_nc_u32_e32 v8, v9, v8
	v_mul_lo_u32 v9, s0, v4
	v_add_nc_u32_e32 v8, v8, v10
	v_mul_hi_u32 v10, v4, v9
	v_mul_lo_u32 v11, v4, v8
	v_mul_hi_u32 v12, v4, v8
	v_mul_hi_u32 v13, v7, v9
	v_mul_lo_u32 v9, v7, v9
	v_mul_hi_u32 v14, v7, v8
	v_mul_lo_u32 v8, v7, v8
	v_add_co_u32 v10, vcc_lo, v10, v11
	v_add_co_ci_u32_e32 v11, vcc_lo, 0, v12, vcc_lo
	v_add_co_u32 v9, vcc_lo, v10, v9
	v_add_co_ci_u32_e32 v9, vcc_lo, v11, v13, vcc_lo
	v_add_co_ci_u32_e32 v10, vcc_lo, 0, v14, vcc_lo
	v_add_co_u32 v8, vcc_lo, v9, v8
	v_add_co_ci_u32_e32 v9, vcc_lo, 0, v10, vcc_lo
	v_add_co_u32 v4, vcc_lo, v4, v8
	v_add_co_ci_u32_e32 v7, vcc_lo, v7, v9, vcc_lo
	v_mul_hi_u32 v8, s0, v4
	v_mul_lo_u32 v10, s20, v4
	v_mul_lo_u32 v9, s0, v7
	v_add_nc_u32_e32 v8, v8, v9
	v_mul_lo_u32 v9, s0, v4
	v_add_nc_u32_e32 v8, v8, v10
	v_mul_hi_u32 v10, v4, v9
	v_mul_lo_u32 v11, v4, v8
	v_mul_hi_u32 v12, v4, v8
	v_mul_hi_u32 v13, v7, v9
	v_mul_lo_u32 v9, v7, v9
	v_mul_hi_u32 v14, v7, v8
	v_mul_lo_u32 v8, v7, v8
	v_add_co_u32 v10, vcc_lo, v10, v11
	v_add_co_ci_u32_e32 v11, vcc_lo, 0, v12, vcc_lo
	v_add_co_u32 v9, vcc_lo, v10, v9
	v_add_co_ci_u32_e32 v9, vcc_lo, v11, v13, vcc_lo
	v_add_co_ci_u32_e32 v10, vcc_lo, 0, v14, vcc_lo
	v_add_co_u32 v8, vcc_lo, v9, v8
	v_add_co_ci_u32_e32 v9, vcc_lo, 0, v10, vcc_lo
	v_add_co_u32 v4, vcc_lo, v4, v8
	v_add_co_ci_u32_e32 v11, vcc_lo, v7, v9, vcc_lo
	v_mul_hi_u32 v13, v5, v4
	v_mad_u64_u32 v[9:10], null, v6, v4, 0
	v_mad_u64_u32 v[7:8], null, v5, v11, 0
	;; [unrolled: 1-line block ×3, first 2 shown]
	v_add_co_u32 v4, vcc_lo, v13, v7
	v_add_co_ci_u32_e32 v7, vcc_lo, 0, v8, vcc_lo
	v_add_co_u32 v4, vcc_lo, v4, v9
	v_add_co_ci_u32_e32 v4, vcc_lo, v7, v10, vcc_lo
	v_add_co_ci_u32_e32 v7, vcc_lo, 0, v12, vcc_lo
	v_add_co_u32 v4, vcc_lo, v4, v11
	v_add_co_ci_u32_e32 v9, vcc_lo, 0, v7, vcc_lo
	v_mul_lo_u32 v10, s19, v4
	v_mad_u64_u32 v[7:8], null, s18, v4, 0
	v_mul_lo_u32 v11, s18, v9
	v_sub_co_u32 v7, vcc_lo, v5, v7
	v_add3_u32 v8, v8, v11, v10
	v_sub_nc_u32_e32 v10, v6, v8
	v_subrev_co_ci_u32_e64 v10, s0, s19, v10, vcc_lo
	v_add_co_u32 v11, s0, v4, 2
	v_add_co_ci_u32_e64 v12, s0, 0, v9, s0
	v_sub_co_u32 v13, s0, v7, s18
	v_sub_co_ci_u32_e32 v8, vcc_lo, v6, v8, vcc_lo
	v_subrev_co_ci_u32_e64 v10, s0, 0, v10, s0
	v_cmp_le_u32_e32 vcc_lo, s18, v13
	v_cmp_eq_u32_e64 s0, s19, v8
	v_cndmask_b32_e64 v13, 0, -1, vcc_lo
	v_cmp_le_u32_e32 vcc_lo, s19, v10
	v_cndmask_b32_e64 v14, 0, -1, vcc_lo
	v_cmp_le_u32_e32 vcc_lo, s18, v7
	;; [unrolled: 2-line block ×3, first 2 shown]
	v_cndmask_b32_e64 v15, 0, -1, vcc_lo
	v_cmp_eq_u32_e32 vcc_lo, s19, v10
	v_cndmask_b32_e64 v7, v15, v7, s0
	v_cndmask_b32_e32 v10, v14, v13, vcc_lo
	v_add_co_u32 v13, vcc_lo, v4, 1
	v_add_co_ci_u32_e32 v14, vcc_lo, 0, v9, vcc_lo
	v_cmp_ne_u32_e32 vcc_lo, 0, v10
	v_cndmask_b32_e32 v8, v14, v12, vcc_lo
	v_cndmask_b32_e32 v10, v13, v11, vcc_lo
	v_cmp_ne_u32_e32 vcc_lo, 0, v7
	v_cndmask_b32_e32 v8, v9, v8, vcc_lo
	v_cndmask_b32_e32 v7, v4, v10, vcc_lo
.LBB0_4:                                ;   in Loop: Header=BB0_2 Depth=1
	s_andn2_saveexec_b32 s0, s1
	s_cbranch_execz .LBB0_6
; %bb.5:                                ;   in Loop: Header=BB0_2 Depth=1
	v_cvt_f32_u32_e32 v4, s18
	s_sub_i32 s1, 0, s18
	v_rcp_iflag_f32_e32 v4, v4
	v_mul_f32_e32 v4, 0x4f7ffffe, v4
	v_cvt_u32_f32_e32 v4, v4
	v_mul_lo_u32 v7, s1, v4
	v_mul_hi_u32 v7, v4, v7
	v_add_nc_u32_e32 v4, v4, v7
	v_mul_hi_u32 v4, v5, v4
	v_mul_lo_u32 v7, v4, s18
	v_add_nc_u32_e32 v8, 1, v4
	v_sub_nc_u32_e32 v7, v5, v7
	v_subrev_nc_u32_e32 v9, s18, v7
	v_cmp_le_u32_e32 vcc_lo, s18, v7
	v_cndmask_b32_e32 v7, v7, v9, vcc_lo
	v_cndmask_b32_e32 v4, v4, v8, vcc_lo
	v_cmp_le_u32_e32 vcc_lo, s18, v7
	v_add_nc_u32_e32 v8, 1, v4
	v_cndmask_b32_e32 v7, v4, v8, vcc_lo
	v_mov_b32_e32 v8, v3
.LBB0_6:                                ;   in Loop: Header=BB0_2 Depth=1
	s_or_b32 exec_lo, exec_lo, s0
	s_load_dwordx2 s[0:1], s[6:7], 0x0
	v_mul_lo_u32 v4, v8, s18
	v_mul_lo_u32 v11, v7, s19
	v_mad_u64_u32 v[9:10], null, v7, s18, 0
	s_add_u32 s16, s16, 1
	s_addc_u32 s17, s17, 0
	s_add_u32 s6, s6, 8
	s_addc_u32 s7, s7, 0
	;; [unrolled: 2-line block ×3, first 2 shown]
	v_add3_u32 v4, v10, v11, v4
	v_sub_co_u32 v5, vcc_lo, v5, v9
	v_sub_co_ci_u32_e32 v4, vcc_lo, v6, v4, vcc_lo
	s_waitcnt lgkmcnt(0)
	v_mul_lo_u32 v6, s1, v5
	v_mul_lo_u32 v4, s0, v4
	v_mad_u64_u32 v[1:2], null, s0, v5, v[1:2]
	v_cmp_ge_u64_e64 s0, s[16:17], s[10:11]
	s_and_b32 vcc_lo, exec_lo, s0
	v_add3_u32 v2, v6, v2, v4
	s_cbranch_vccnz .LBB0_9
; %bb.7:                                ;   in Loop: Header=BB0_2 Depth=1
	v_mov_b32_e32 v5, v7
	v_mov_b32_e32 v6, v8
	s_branch .LBB0_2
.LBB0_8:
	v_mov_b32_e32 v8, v6
	v_mov_b32_e32 v7, v5
.LBB0_9:
	s_lshl_b64 s[0:1], s[10:11], 3
	v_mul_hi_u32 v5, 0x16c16c2, v0
	s_add_u32 s0, s12, s0
	s_addc_u32 s1, s13, s1
                                        ; implicit-def: $vgpr23
                                        ; implicit-def: $vgpr29
                                        ; implicit-def: $vgpr9
                                        ; implicit-def: $vgpr24
                                        ; implicit-def: $vgpr25
                                        ; implicit-def: $vgpr13
                                        ; implicit-def: $vgpr10
                                        ; implicit-def: $vgpr26
                                        ; implicit-def: $vgpr27
                                        ; implicit-def: $vgpr14
                                        ; implicit-def: $vgpr11
                                        ; implicit-def: $vgpr28
                                        ; implicit-def: $vgpr30
                                        ; implicit-def: $vgpr18
                                        ; implicit-def: $vgpr6
	s_load_dwordx2 s[0:1], s[0:1], 0x0
	s_load_dwordx2 s[4:5], s[4:5], 0x20
	s_waitcnt lgkmcnt(0)
	v_mul_lo_u32 v3, s0, v8
	v_mul_lo_u32 v4, s1, v7
	v_mad_u64_u32 v[1:2], null, s0, v7, v[1:2]
	v_cmp_gt_u64_e32 vcc_lo, s[4:5], v[7:8]
                                        ; implicit-def: $vgpr8
                                        ; implicit-def: $vgpr7
	v_add3_u32 v2, v4, v2, v3
	v_mul_u32_u24_e32 v4, 0xb4, v5
                                        ; implicit-def: $vgpr5
	v_lshlrev_b64 v[2:3], 2, v[1:2]
	v_sub_nc_u32_e32 v0, v0, v4
                                        ; implicit-def: $vgpr4
                                        ; implicit-def: $vgpr1
	s_and_saveexec_b32 s1, vcc_lo
	s_cbranch_execz .LBB0_11
; %bb.10:
	v_mov_b32_e32 v1, 0
	v_lshlrev_b64 v[4:5], 2, v[0:1]
	v_add_co_u32 v1, s0, s2, v2
	v_add_co_ci_u32_e64 v7, s0, s3, v3, s0
	v_add_co_u32 v6, s0, v1, v4
	v_add_co_ci_u32_e64 v7, s0, v7, v5, s0
	;; [unrolled: 2-line block ×5, first 2 shown]
	s_clause 0x9
	global_load_dword v1, v[6:7], off
	global_load_dword v5, v[6:7], off offset:720
	global_load_dword v30, v[6:7], off offset:1440
	;; [unrolled: 1-line block ×9, first 2 shown]
	s_waitcnt vmcnt(9)
	v_lshrrev_b32_e32 v6, 16, v1
	s_waitcnt vmcnt(8)
	v_lshrrev_b32_e32 v18, 16, v5
	;; [unrolled: 2-line block ×10, first 2 shown]
.LBB0_11:
	s_or_b32 exec_lo, exec_lo, s1
	v_add_f16_e32 v12, v25, v27
	v_sub_f16_e32 v16, v28, v23
	v_add_f16_e32 v21, v29, v30
	v_add_f16_e32 v15, v30, v1
	v_sub_f16_e32 v17, v26, v24
	v_fma_f16 v20, -0.5, v12, v1
	v_sub_f16_e32 v19, v30, v27
	v_sub_f16_e32 v12, v29, v25
	v_fmac_f16_e32 v1, -0.5, v21
	v_sub_f16_e32 v22, v27, v30
	v_fmamk_f16 v38, v16, 0xbb9c, v20
	v_fmac_f16_e32 v20, 0x3b9c, v16
	v_add_f16_e32 v12, v12, v19
	v_add_f16_e32 v19, v7, v10
	v_fmamk_f16 v21, v17, 0x3b9c, v1
	v_fmac_f16_e32 v38, 0xb8b4, v17
	v_fmac_f16_e32 v20, 0x38b4, v17
	v_sub_f16_e32 v32, v25, v29
	v_fmac_f16_e32 v1, 0xbb9c, v17
	v_add_f16_e32 v17, v11, v5
	v_fma_f16 v31, -0.5, v19, v5
	v_fmac_f16_e32 v21, 0xb8b4, v16
	v_add_f16_e32 v19, v32, v22
	v_fmac_f16_e32 v1, 0x38b4, v16
	v_add_f16_e32 v16, v10, v17
	v_add_f16_e32 v17, v4, v11
	v_fmac_f16_e32 v38, 0x34f2, v12
	v_fmac_f16_e32 v20, 0x34f2, v12
	v_sub_f16_e32 v12, v14, v8
	v_sub_f16_e32 v33, v11, v10
	;; [unrolled: 1-line block ×3, first 2 shown]
	v_fmac_f16_e32 v21, 0x34f2, v19
	v_fmac_f16_e32 v1, 0x34f2, v19
	v_fmac_f16_e32 v5, -0.5, v17
	v_add_f16_e32 v17, v9, v13
	v_sub_f16_e32 v19, v10, v11
	v_sub_f16_e32 v35, v7, v4
	v_fmamk_f16 v32, v12, 0xbb9c, v31
	v_sub_f16_e32 v22, v13, v9
	v_add_f16_e32 v36, v34, v33
	v_fmac_f16_e32 v31, 0x3b9c, v12
	v_fma_f16 v33, -0.5, v17, v18
	v_add_f16_e32 v17, v35, v19
	v_add_f16_e32 v19, v8, v14
	v_fmac_f16_e32 v32, 0xb8b4, v22
	v_add_f16_e32 v16, v7, v16
	v_sub_f16_e32 v11, v11, v4
	v_fmac_f16_e32 v31, 0x38b4, v22
	v_sub_f16_e32 v7, v10, v7
	v_fma_f16 v37, -0.5, v19, v18
	v_fmac_f16_e32 v32, 0x34f2, v36
	v_fmamk_f16 v34, v22, 0x3b9c, v5
	v_fmamk_f16 v35, v11, 0x3b9c, v33
	v_fmac_f16_e32 v31, 0x34f2, v36
	v_fmac_f16_e32 v5, 0xbb9c, v22
	v_sub_f16_e32 v10, v14, v13
	v_sub_f16_e32 v19, v8, v9
	v_fmamk_f16 v36, v7, 0xbb9c, v37
	v_sub_f16_e32 v22, v13, v14
	v_sub_f16_e32 v39, v9, v8
	v_fmac_f16_e32 v37, 0x3b9c, v7
	v_fmac_f16_e32 v33, 0xbb9c, v11
	v_fmac_f16_e32 v35, 0x38b4, v7
	v_add_f16_e32 v10, v19, v10
	v_fmac_f16_e32 v36, 0x38b4, v11
	v_add_f16_e32 v19, v39, v22
	v_fmac_f16_e32 v37, 0xb8b4, v11
	v_fmac_f16_e32 v33, 0xb8b4, v7
	v_add_f16_e32 v15, v27, v15
	v_fmac_f16_e32 v34, 0xb8b4, v12
	v_fmac_f16_e32 v5, 0x38b4, v12
	;; [unrolled: 1-line block ×6, first 2 shown]
	v_add_f16_e32 v15, v25, v15
	v_fmac_f16_e32 v34, 0x34f2, v17
	v_fmac_f16_e32 v5, 0x34f2, v17
	v_mul_f16_e32 v7, 0xb8b4, v35
	v_mul_f16_e32 v10, 0xbb9c, v36
	;; [unrolled: 1-line block ×4, first 2 shown]
	v_add_f16_e32 v15, v29, v15
	v_add_f16_e32 v4, v4, v16
	v_fmac_f16_e32 v7, 0x3a79, v32
	v_fmac_f16_e32 v10, 0x34f2, v34
	v_fmamk_f16 v11, v5, 0xb4f2, v11
	v_fmamk_f16 v16, v31, 0xba79, v12
	v_add_f16_e32 v17, v4, v15
	v_add_f16_e32 v19, v38, v7
	;; [unrolled: 1-line block ×4, first 2 shown]
	v_mul_u32_u24_e32 v41, 10, v0
	v_add_f16_e32 v40, v20, v16
	v_sub_f16_e32 v15, v15, v4
	v_sub_f16_e32 v4, v38, v7
	;; [unrolled: 1-line block ×5, first 2 shown]
	v_lshl_add_u32 v38, v41, 1, 0
	v_pack_b32_f16 v1, v22, v39
	v_pack_b32_f16 v7, v17, v19
	;; [unrolled: 1-line block ×5, first 2 shown]
	ds_write2_b32 v38, v7, v1 offset1:1
	ds_write2_b32 v38, v15, v16 offset0:2 offset1:3
	v_mad_i32_i24 v1, 0xffffffee, v0, v38
	ds_write_b32 v38, v17 offset:16
	s_waitcnt lgkmcnt(0)
	s_barrier
	buffer_gl0_inv
	ds_read_u16 v7, v1
	ds_read_u16 v22, v1 offset:600
	ds_read_u16 v21, v1 offset:1200
	;; [unrolled: 1-line block ×5, first 2 shown]
	v_mul_i32_i24_e32 v1, 0xffffffee, v0
	v_cmp_gt_u32_e64 s0, 0x78, v0
                                        ; implicit-def: $vgpr16
                                        ; implicit-def: $vgpr20
	v_add_nc_u32_e32 v1, v38, v1
	s_and_saveexec_b32 s1, s0
	s_cbranch_execz .LBB0_13
; %bb.12:
	ds_read_u16 v4, v1 offset:360
	ds_read_u16 v12, v1 offset:960
	;; [unrolled: 1-line block ×6, first 2 shown]
.LBB0_13:
	s_or_b32 exec_lo, exec_lo, s1
	v_add_f16_e32 v39, v28, v6
	v_add_f16_e32 v40, v24, v26
	;; [unrolled: 1-line block ×3, first 2 shown]
	v_sub_f16_e32 v25, v27, v25
	v_sub_f16_e32 v29, v30, v29
	v_add_f16_e32 v39, v26, v39
	v_fma_f16 v40, -0.5, v40, v6
	v_fmac_f16_e32 v6, -0.5, v41
	v_sub_f16_e32 v30, v28, v26
	v_sub_f16_e32 v42, v23, v24
	v_add_f16_e32 v27, v24, v39
	v_sub_f16_e32 v26, v26, v28
	v_fmamk_f16 v41, v25, 0xbb9c, v6
	v_fmac_f16_e32 v6, 0x3b9c, v25
	v_add_f16_e32 v14, v14, v18
	v_add_f16_e32 v27, v23, v27
	v_sub_f16_e32 v23, v24, v23
	v_fmamk_f16 v39, v29, 0x3b9c, v40
	v_fmac_f16_e32 v41, 0x38b4, v29
	v_fmac_f16_e32 v6, 0xb8b4, v29
	v_add_f16_e32 v13, v13, v14
	v_add_f16_e32 v18, v23, v26
	v_fmac_f16_e32 v40, 0xbb9c, v29
	v_add_f16_e32 v30, v42, v30
	v_fmac_f16_e32 v39, 0x38b4, v25
	;; [unrolled: 2-line block ×3, first 2 shown]
	v_fmac_f16_e32 v6, 0x34f2, v18
	v_mul_f16_e32 v13, 0x38b4, v32
	v_mul_f16_e32 v14, 0x3b9c, v34
	;; [unrolled: 1-line block ×3, first 2 shown]
	v_fmac_f16_e32 v40, 0xb8b4, v25
	v_mul_f16_e32 v23, 0x3a79, v33
	v_fmac_f16_e32 v39, 0x34f2, v30
	v_add_f16_e32 v8, v8, v9
	v_fmac_f16_e32 v13, 0x3a79, v35
	v_fmac_f16_e32 v14, 0x34f2, v36
	v_fma_f16 v9, v5, 0x3b9c, -v18
	v_fmac_f16_e32 v40, 0x34f2, v30
	v_fma_f16 v24, v31, 0x38b4, -v23
	v_add_f16_e32 v25, v8, v27
	v_add_f16_e32 v26, v39, v13
	;; [unrolled: 1-line block ×5, first 2 shown]
	v_sub_f16_e32 v8, v27, v8
	v_sub_f16_e32 v5, v39, v13
	;; [unrolled: 1-line block ×5, first 2 shown]
	v_pack_b32_f16 v6, v28, v29
	v_pack_b32_f16 v9, v25, v26
	;; [unrolled: 1-line block ×5, first 2 shown]
	s_waitcnt lgkmcnt(0)
	s_barrier
	buffer_gl0_inv
	ds_write2_b32 v38, v9, v6 offset1:1
	ds_write2_b32 v38, v8, v14 offset0:2 offset1:3
	ds_write_b32 v38, v24 offset:16
	s_waitcnt lgkmcnt(0)
	s_barrier
	buffer_gl0_inv
	ds_read_u16 v9, v1
	ds_read_u16 v31, v1 offset:600
	ds_read_u16 v30, v1 offset:1200
	;; [unrolled: 1-line block ×5, first 2 shown]
                                        ; implicit-def: $vgpr25
                                        ; implicit-def: $vgpr26
	s_and_saveexec_b32 s1, s0
	s_cbranch_execz .LBB0_15
; %bb.14:
	ds_read_u16 v5, v1 offset:360
	ds_read_u16 v23, v1 offset:960
	;; [unrolled: 1-line block ×6, first 2 shown]
.LBB0_15:
	s_or_b32 exec_lo, exec_lo, s1
	v_and_b32_e32 v8, 0xff, v0
	v_add_nc_u32_e32 v6, 0xb4, v0
	v_mov_b32_e32 v24, 0xcccd
	v_mov_b32_e32 v33, 5
	;; [unrolled: 1-line block ×3, first 2 shown]
	v_mul_lo_u16 v14, 0xcd, v8
	v_lshrrev_b16 v32, 11, v14
	v_mul_u32_u24_sdwa v14, v6, v24 dst_sel:DWORD dst_unused:UNUSED_PAD src0_sel:WORD_0 src1_sel:DWORD
	v_mul_lo_u16 v24, v32, 10
	v_lshrrev_b32_e32 v34, 19, v14
	v_sub_nc_u16 v24, v0, v24
	v_mul_lo_u16 v14, v34, 10
	v_mul_u32_u24_sdwa v35, v24, v33 dst_sel:DWORD dst_unused:UNUSED_PAD src0_sel:BYTE_0 src1_sel:DWORD
	v_sub_nc_u16 v14, v6, v14
	v_lshlrev_b32_e32 v35, 2, v35
	v_mul_u32_u24_sdwa v33, v14, v33 dst_sel:DWORD dst_unused:UNUSED_PAD src0_sel:WORD_0 src1_sel:DWORD
	global_load_dwordx4 v[42:45], v35, s[8:9]
	v_lshlrev_b32_e32 v33, 2, v33
	s_clause 0x2
	global_load_dword v50, v35, s[8:9] offset:16
	global_load_dwordx4 v[46:49], v33, s[8:9]
	global_load_dword v51, v33, s[8:9] offset:16
	v_mov_b32_e32 v33, 0x78
	s_waitcnt vmcnt(0) lgkmcnt(0)
	s_barrier
	buffer_gl0_inv
	v_mul_u32_u24_sdwa v32, v32, v33 dst_sel:DWORD dst_unused:UNUSED_PAD src0_sel:WORD_0 src1_sel:DWORD
	v_lshlrev_b32_sdwa v33, v38, v24 dst_sel:DWORD dst_unused:UNUSED_PAD src0_sel:DWORD src1_sel:BYTE_0
	v_mul_lo_u16 v24, v34, 60
	v_add3_u32 v32, 0, v32, v33
	v_mul_f16_sdwa v54, v29, v44 dst_sel:DWORD dst_unused:UNUSED_PAD src0_sel:DWORD src1_sel:WORD_1
	v_mul_f16_sdwa v55, v19, v44 dst_sel:DWORD dst_unused:UNUSED_PAD src0_sel:DWORD src1_sel:WORD_1
	;; [unrolled: 1-line block ×16, first 2 shown]
	v_fmac_f16_e32 v54, v19, v44
	v_fma_f16 v19, v29, v44, -v55
	v_fmac_f16_e32 v57, v15, v50
	v_fma_f16 v15, v27, v50, -v58
	v_fma_f16 v29, v13, v48, -v61
	;; [unrolled: 1-line block ×3, first 2 shown]
	v_mul_f16_sdwa v53, v21, v43 dst_sel:DWORD dst_unused:UNUSED_PAD src0_sel:DWORD src1_sel:WORD_1
	v_mul_f16_sdwa v40, v23, v46 dst_sel:DWORD dst_unused:UNUSED_PAD src0_sel:DWORD src1_sel:WORD_1
	v_mul_f16_sdwa v60, v11, v47 dst_sel:DWORD dst_unused:UNUSED_PAD src0_sel:DWORD src1_sel:WORD_1
	v_mul_f16_sdwa v62, v20, v49 dst_sel:DWORD dst_unused:UNUSED_PAD src0_sel:DWORD src1_sel:WORD_1
	v_fmac_f16_e32 v33, v22, v42
	v_fma_f16 v22, v31, v42, -v52
	v_fmac_f16_e32 v36, v21, v43
	v_fmac_f16_e32 v37, v17, v45
	v_fma_f16 v17, v28, v45, -v56
	v_fma_f16 v27, v23, v46, -v59
	v_fmac_f16_e32 v34, v11, v47
	v_fmac_f16_e32 v41, v10, v48
	;; [unrolled: 1-line block ×4, first 2 shown]
	v_add_f16_e32 v16, v54, v57
	v_add_f16_e32 v20, v19, v15
	v_add_f16_e32 v45, v29, v25
	v_fma_f16 v21, v30, v43, -v53
	v_fmac_f16_e32 v40, v12, v46
	v_fma_f16 v28, v18, v47, -v60
	v_fma_f16 v26, v26, v49, -v62
	v_add_f16_e32 v10, v7, v36
	v_add_f16_e32 v11, v36, v37
	;; [unrolled: 1-line block ×3, first 2 shown]
	v_sub_f16_e32 v18, v19, v15
	v_sub_f16_e32 v42, v54, v57
	v_add_f16_e32 v23, v34, v35
	v_add_f16_e32 v30, v41, v39
	v_sub_f16_e32 v46, v41, v39
	v_fmac_f16_e32 v33, -0.5, v16
	v_fma_f16 v20, -0.5, v20, v22
	v_fma_f16 v16, -0.5, v45, v27
	v_sub_f16_e32 v13, v21, v17
	v_sub_f16_e32 v43, v28, v26
	;; [unrolled: 1-line block ×3, first 2 shown]
	v_add_f16_e32 v10, v10, v37
	v_fmac_f16_e32 v7, -0.5, v11
	v_add_f16_e32 v11, v12, v57
	v_fma_f16 v31, -0.5, v23, v4
	v_fma_f16 v12, -0.5, v30, v40
	v_fmamk_f16 v23, v18, 0xbaee, v33
	v_fmac_f16_e32 v33, 0x3aee, v18
	v_fmamk_f16 v30, v42, 0x3aee, v20
	v_fmamk_f16 v18, v46, 0x3aee, v16
	v_fmac_f16_e32 v16, 0xbaee, v46
	v_fmac_f16_e32 v20, 0xbaee, v42
	v_fmamk_f16 v45, v13, 0xbaee, v7
	v_fmac_f16_e32 v7, 0x3aee, v13
	v_add_f16_e32 v47, v10, v11
	v_sub_f16_e32 v10, v10, v11
	v_fmamk_f16 v42, v43, 0xbaee, v31
	v_fmac_f16_e32 v31, 0x3aee, v43
	v_fmamk_f16 v13, v44, 0xbaee, v12
	v_fmac_f16_e32 v12, 0x3aee, v44
	v_mul_f16_e32 v11, 0xbaee, v30
	v_mul_f16_e32 v44, 0xbaee, v18
	;; [unrolled: 1-line block ×4, first 2 shown]
	ds_write_b16 v32, v47
	v_fmac_f16_e32 v11, 0.5, v23
	v_fmac_f16_e32 v44, 0.5, v13
	v_fmac_f16_e32 v43, -0.5, v12
	v_fmac_f16_e32 v46, -0.5, v33
	ds_write_b16 v32, v10 offset:60
	v_add_f16_e32 v47, v45, v11
	v_sub_f16_e32 v45, v45, v11
	v_sub_f16_e32 v10, v42, v44
	;; [unrolled: 1-line block ×3, first 2 shown]
	v_add_f16_e32 v48, v7, v46
	v_sub_f16_e32 v7, v7, v46
	ds_write_b16 v32, v47 offset:20
	ds_write_b16 v32, v48 offset:40
	;; [unrolled: 1-line block ×4, first 2 shown]
	s_and_saveexec_b32 s1, s0
	s_cbranch_execz .LBB0_17
; %bb.16:
	v_add_f16_e32 v4, v4, v34
	v_add_f16_e32 v7, v40, v41
	v_lshlrev_b32_sdwa v40, v38, v14 dst_sel:DWORD dst_unused:UNUSED_PAD src0_sel:DWORD src1_sel:WORD_0
	v_lshlrev_b32_sdwa v38, v38, v24 dst_sel:DWORD dst_unused:UNUSED_PAD src0_sel:DWORD src1_sel:WORD_0
	v_add_f16_e32 v31, v31, v43
	v_add_f16_e32 v4, v4, v35
	v_add_f16_e32 v7, v7, v39
	v_add_f16_e32 v39, v42, v44
	v_add3_u32 v38, 0, v40, v38
	v_add_f16_e32 v40, v4, v7
	v_sub_f16_e32 v4, v4, v7
	ds_write_b16 v38, v39 offset:20
	ds_write_b16 v38, v31 offset:40
	;; [unrolled: 1-line block ×3, first 2 shown]
	ds_write_b16 v38, v40
	ds_write_b16 v38, v4 offset:60
	ds_write_b16 v38, v11 offset:100
.LBB0_17:
	s_or_b32 exec_lo, exec_lo, s1
	v_add_f16_e32 v4, v21, v17
	v_add_f16_e32 v7, v9, v21
	v_sub_f16_e32 v21, v36, v37
	v_add_f16_e32 v19, v22, v19
	v_mul_f16_e32 v36, 0.5, v30
	v_fmac_f16_e32 v9, -0.5, v4
	v_add_f16_e32 v4, v28, v26
	v_mul_f16_e32 v37, -0.5, v20
	v_add_f16_e32 v38, v7, v17
	v_add_f16_e32 v39, v19, v15
	v_fmac_f16_e32 v36, 0x3aee, v23
	v_fma_f16 v30, -0.5, v4, v5
	v_lshl_add_u32 v4, v0, 1, 0
	v_fmamk_f16 v40, v21, 0x3aee, v9
	v_fmac_f16_e32 v37, 0x3aee, v33
	v_fmac_f16_e32 v9, 0xbaee, v21
	v_mul_f16_e32 v31, 0.5, v18
	v_mul_f16_e32 v33, -0.5, v16
	s_waitcnt lgkmcnt(0)
	s_barrier
	buffer_gl0_inv
	ds_read_u16 v22, v4 offset:360
	ds_read_u16 v21, v4 offset:720
	;; [unrolled: 1-line block ×6, first 2 shown]
	ds_read_u16 v7, v1
	ds_read_u16 v23, v4 offset:1080
	ds_read_u16 v18, v1 offset:2880
	;; [unrolled: 1-line block ×3, first 2 shown]
	v_sub_f16_e32 v35, v34, v35
	v_fmac_f16_e32 v31, 0x3aee, v13
	v_fmac_f16_e32 v33, 0x3aee, v12
	v_add_f16_e32 v41, v38, v39
	v_add_f16_e32 v42, v40, v36
	v_fmamk_f16 v34, v35, 0x3aee, v30
	v_fmac_f16_e32 v30, 0xbaee, v35
	v_add_f16_e32 v43, v9, v37
	v_sub_f16_e32 v35, v38, v39
	v_sub_f16_e32 v36, v40, v36
	;; [unrolled: 1-line block ×5, first 2 shown]
	s_waitcnt lgkmcnt(0)
	s_barrier
	buffer_gl0_inv
	ds_write_b16 v32, v41
	ds_write_b16 v32, v42 offset:20
	ds_write_b16 v32, v43 offset:40
	;; [unrolled: 1-line block ×5, first 2 shown]
	s_and_saveexec_b32 s1, s0
	s_cbranch_execz .LBB0_19
; %bb.18:
	v_add_f16_e32 v5, v5, v28
	v_add_f16_e32 v9, v27, v29
	v_mov_b32_e32 v27, 1
	v_add_f16_e32 v5, v5, v26
	v_add_f16_e32 v9, v9, v25
	v_lshlrev_b32_sdwa v14, v27, v14 dst_sel:DWORD dst_unused:UNUSED_PAD src0_sel:DWORD src1_sel:WORD_0
	v_lshlrev_b32_sdwa v24, v27, v24 dst_sel:DWORD dst_unused:UNUSED_PAD src0_sel:DWORD src1_sel:WORD_0
	v_add_f16_e32 v26, v30, v33
	v_add_f16_e32 v25, v5, v9
	v_sub_f16_e32 v5, v5, v9
	v_add3_u32 v14, 0, v14, v24
	v_add_f16_e32 v24, v34, v31
	ds_write_b16 v14, v25
	ds_write_b16 v14, v24 offset:20
	ds_write_b16 v14, v26 offset:40
	;; [unrolled: 1-line block ×5, first 2 shown]
.LBB0_19:
	s_or_b32 exec_lo, exec_lo, s1
	v_mul_lo_u16 v5, 0x89, v8
	v_mov_b32_e32 v9, 9
	s_waitcnt lgkmcnt(0)
	s_barrier
	buffer_gl0_inv
	v_lshrrev_b16 v5, 13, v5
	v_mov_b32_e32 v25, 1
	v_cmp_gt_u32_e64 s0, 60, v0
	v_mul_lo_u16 v8, v5, 60
	v_sub_nc_u16 v8, v0, v8
	v_mul_u32_u24_sdwa v9, v8, v9 dst_sel:DWORD dst_unused:UNUSED_PAD src0_sel:BYTE_0 src1_sel:DWORD
	v_lshlrev_b32_e32 v9, 2, v9
	s_clause 0x2
	global_load_dwordx4 v[32:35], v9, s[8:9] offset:200
	global_load_dwordx4 v[41:44], v9, s[8:9] offset:216
	global_load_dword v14, v9, s[8:9] offset:232
	v_mov_b32_e32 v9, 0x4b0
	ds_read_u16 v24, v4 offset:360
	ds_read_u16 v26, v4 offset:720
	;; [unrolled: 1-line block ×6, first 2 shown]
	v_mul_u32_u24_sdwa v5, v5, v9 dst_sel:DWORD dst_unused:UNUSED_PAD src0_sel:WORD_0 src1_sel:DWORD
	v_lshlrev_b32_sdwa v9, v25, v8 dst_sel:DWORD dst_unused:UNUSED_PAD src0_sel:DWORD src1_sel:BYTE_0
	ds_read_u16 v45, v1 offset:2520
	ds_read_u16 v8, v1
	ds_read_u16 v46, v1 offset:2880
	ds_read_u16 v47, v1 offset:3240
	s_waitcnt vmcnt(0) lgkmcnt(0)
	s_barrier
	buffer_gl0_inv
	v_add3_u32 v5, 0, v5, v9
	v_mul_f16_sdwa v36, v26, v33 dst_sel:DWORD dst_unused:UNUSED_PAD src0_sel:DWORD src1_sel:WORD_1
	v_mul_f16_sdwa v28, v21, v33 dst_sel:DWORD dst_unused:UNUSED_PAD src0_sel:DWORD src1_sel:WORD_1
	;; [unrolled: 1-line block ×16, first 2 shown]
	v_fmac_f16_e32 v36, v21, v33
	v_fma_f16 v30, v26, v33, -v28
	v_fmac_f16_e32 v48, v23, v34
	v_fma_f16 v28, v27, v34, -v49
	v_fmac_f16_e32 v29, v20, v35
	v_fmac_f16_e32 v51, v19, v41
	v_fma_f16 v27, v38, v41, -v52
	v_fmac_f16_e32 v31, v17, v42
	;; [unrolled: 3-line block ×3, first 2 shown]
	v_fmac_f16_e32 v57, v16, v14
	v_fma_f16 v19, v47, v14, -v58
	v_mul_f16_sdwa v53, v17, v42 dst_sel:DWORD dst_unused:UNUSED_PAD src0_sel:DWORD src1_sel:WORD_1
	v_mul_f16_sdwa v56, v18, v44 dst_sel:DWORD dst_unused:UNUSED_PAD src0_sel:DWORD src1_sel:WORD_1
	v_fmac_f16_e32 v9, v22, v32
	v_fma_f16 v25, v24, v32, -v25
	v_fma_f16 v32, v37, v35, -v50
	v_sub_f16_e32 v18, v36, v29
	v_sub_f16_e32 v20, v40, v31
	;; [unrolled: 1-line block ×6, first 2 shown]
	v_add_f16_e32 v43, v27, v26
	v_add_f16_e32 v50, v28, v19
	v_fma_f16 v33, v39, v42, -v53
	v_fma_f16 v35, v46, v44, -v56
	v_add_f16_e32 v14, v7, v36
	v_add_f16_e32 v15, v29, v31
	;; [unrolled: 1-line block ×5, first 2 shown]
	v_sub_f16_e32 v46, v48, v57
	v_add_f16_e32 v18, v18, v20
	v_add_f16_e32 v20, v22, v23
	;; [unrolled: 1-line block ×3, first 2 shown]
	v_fma_f16 v37, -0.5, v43, v25
	v_add_f16_e32 v39, v48, v57
	v_sub_f16_e32 v41, v51, v48
	v_sub_f16_e32 v42, v54, v57
	;; [unrolled: 1-line block ×3, first 2 shown]
	v_fma_f16 v38, -0.5, v50, v25
	v_sub_f16_e32 v17, v32, v33
	v_sub_f16_e32 v44, v28, v19
	;; [unrolled: 1-line block ×4, first 2 shown]
	v_add_f16_e32 v14, v14, v29
	v_fma_f16 v15, -0.5, v15, v7
	v_fmac_f16_e32 v7, -0.5, v21
	v_add_f16_e32 v21, v24, v51
	v_fma_f16 v34, -0.5, v34, v9
	v_fmamk_f16 v43, v46, 0x3b9c, v37
	v_sub_f16_e32 v16, v30, v35
	v_sub_f16_e32 v45, v27, v26
	;; [unrolled: 1-line block ×4, first 2 shown]
	v_fmac_f16_e32 v9, -0.5, v39
	v_add_f16_e32 v23, v41, v42
	v_fmamk_f16 v42, v47, 0xbb9c, v38
	v_fmac_f16_e32 v38, 0x3b9c, v47
	v_fmac_f16_e32 v37, 0xbb9c, v46
	v_add_f16_e32 v24, v48, v49
	v_add_f16_e32 v14, v14, v31
	v_fmamk_f16 v50, v17, 0x3b9c, v7
	v_fmac_f16_e32 v7, 0xbb9c, v17
	v_add_f16_e32 v21, v21, v54
	v_fmamk_f16 v39, v44, 0xbb9c, v34
	v_fmac_f16_e32 v43, 0x38b4, v47
	;; [unrolled: 3-line block ×3, first 2 shown]
	v_fmamk_f16 v41, v45, 0x3b9c, v9
	v_fmac_f16_e32 v42, 0x38b4, v46
	v_fmac_f16_e32 v9, 0xbb9c, v45
	;; [unrolled: 1-line block ×5, first 2 shown]
	v_add_f16_e32 v14, v14, v40
	v_fmac_f16_e32 v50, 0xb8b4, v16
	v_fmac_f16_e32 v7, 0x38b4, v16
	v_add_f16_e32 v16, v21, v57
	v_fmac_f16_e32 v39, 0xb8b4, v45
	v_fmac_f16_e32 v43, 0x34f2, v24
	;; [unrolled: 1-line block ×11, first 2 shown]
	v_add_f16_e32 v17, v14, v16
	v_sub_f16_e32 v14, v14, v16
	v_mul_f16_e32 v16, 0xb8b4, v43
	v_fmac_f16_e32 v49, 0x34f2, v18
	v_fmac_f16_e32 v15, 0x34f2, v18
	;; [unrolled: 1-line block ×3, first 2 shown]
	v_mul_f16_e32 v18, 0xbb9c, v42
	v_fmac_f16_e32 v50, 0x34f2, v20
	v_fmac_f16_e32 v7, 0x34f2, v20
	;; [unrolled: 1-line block ×3, first 2 shown]
	v_mul_f16_e32 v20, 0xbb9c, v38
	v_fmac_f16_e32 v34, 0x34f2, v22
	v_mul_f16_e32 v21, 0xb8b4, v37
	v_fmac_f16_e32 v16, 0x3a79, v39
	v_fmac_f16_e32 v18, 0x34f2, v41
	ds_write_b16 v5, v17
	v_fmamk_f16 v17, v9, 0xb4f2, v20
	v_fmamk_f16 v20, v34, 0xba79, v21
	v_add_f16_e32 v21, v49, v16
	v_add_f16_e32 v22, v50, v18
	v_sub_f16_e32 v16, v49, v16
	v_add_f16_e32 v23, v7, v17
	v_add_f16_e32 v24, v15, v20
	v_sub_f16_e32 v18, v50, v18
	ds_write_b16 v5, v14 offset:600
	v_sub_f16_e32 v7, v7, v17
	v_sub_f16_e32 v14, v15, v20
	ds_write_b16 v5, v21 offset:120
	ds_write_b16 v5, v22 offset:240
	;; [unrolled: 1-line block ×8, first 2 shown]
	s_waitcnt lgkmcnt(0)
	s_barrier
	buffer_gl0_inv
	ds_read_u16 v16, v4 offset:360
	ds_read_u16 v17, v1 offset:1200
	;; [unrolled: 1-line block ×6, first 2 shown]
	ds_read_u16 v15, v1
	ds_read_u16 v20, v4 offset:720
	ds_read_u16 v24, v1 offset:3120
	s_and_saveexec_b32 s1, s0
	s_cbranch_execz .LBB0_21
; %bb.20:
	ds_read_u16 v14, v4 offset:1080
	ds_read_u16 v10, v1 offset:2280
	;; [unrolled: 1-line block ×3, first 2 shown]
.LBB0_21:
	s_or_b32 exec_lo, exec_lo, s1
	v_add_f16_e32 v44, v32, v33
	v_add_f16_e32 v45, v30, v35
	v_add_f16_e32 v7, v8, v30
	v_sub_f16_e32 v29, v29, v31
	v_add_f16_e32 v25, v25, v28
	v_fma_f16 v44, -0.5, v44, v8
	v_fmac_f16_e32 v8, -0.5, v45
	v_sub_f16_e32 v36, v36, v40
	v_sub_f16_e32 v40, v30, v32
	v_add_f16_e32 v7, v7, v32
	v_sub_f16_e32 v30, v32, v30
	v_fmamk_f16 v45, v29, 0xbb9c, v8
	v_sub_f16_e32 v32, v33, v35
	v_fmac_f16_e32 v8, 0x3b9c, v29
	v_add_f16_e32 v25, v25, v27
	v_sub_f16_e32 v46, v35, v33
	v_fmamk_f16 v31, v36, 0x3b9c, v44
	v_fmac_f16_e32 v45, 0x38b4, v36
	v_add_f16_e32 v28, v30, v32
	v_fmac_f16_e32 v8, 0xb8b4, v36
	v_fmac_f16_e32 v44, 0xbb9c, v36
	v_add_f16_e32 v7, v7, v33
	v_add_f16_e32 v25, v25, v26
	;; [unrolled: 1-line block ×3, first 2 shown]
	v_fmac_f16_e32 v31, 0x38b4, v29
	v_mul_f16_e32 v26, 0x3a79, v43
	v_mul_f16_e32 v27, 0x34f2, v42
	v_fmac_f16_e32 v45, 0x34f2, v28
	v_fmac_f16_e32 v8, 0x34f2, v28
	v_mul_f16_e32 v28, 0x34f2, v38
	v_fmac_f16_e32 v44, 0xb8b4, v29
	v_mul_f16_e32 v29, 0x3a79, v37
	v_add_f16_e32 v7, v7, v35
	v_add_f16_e32 v19, v25, v19
	v_fmac_f16_e32 v31, 0x34f2, v40
	v_fmac_f16_e32 v26, 0x38b4, v39
	;; [unrolled: 1-line block ×3, first 2 shown]
	v_fma_f16 v9, v9, 0x3b9c, -v28
	v_fmac_f16_e32 v44, 0x34f2, v40
	v_fma_f16 v25, v34, 0x38b4, -v29
	v_add_f16_e32 v28, v7, v19
	v_add_f16_e32 v29, v31, v26
	;; [unrolled: 1-line block ×5, first 2 shown]
	v_sub_f16_e32 v26, v31, v26
	v_sub_f16_e32 v27, v45, v27
	;; [unrolled: 1-line block ×5, first 2 shown]
	s_waitcnt lgkmcnt(0)
	s_barrier
	buffer_gl0_inv
	ds_write_b16 v5, v28
	ds_write_b16 v5, v29 offset:120
	ds_write_b16 v5, v30 offset:240
	;; [unrolled: 1-line block ×9, first 2 shown]
	s_waitcnt lgkmcnt(0)
	s_barrier
	buffer_gl0_inv
	ds_read_u16 v26, v4 offset:360
	ds_read_u16 v27, v1 offset:1200
	;; [unrolled: 1-line block ×6, first 2 shown]
	ds_read_u16 v25, v1
	ds_read_u16 v29, v4 offset:720
	ds_read_u16 v33, v1 offset:3120
	s_and_saveexec_b32 s1, s0
	s_cbranch_execz .LBB0_23
; %bb.22:
	ds_read_u16 v19, v4 offset:1080
	ds_read_u16 v12, v1 offset:2280
	;; [unrolled: 1-line block ×3, first 2 shown]
.LBB0_23:
	s_or_b32 exec_lo, exec_lo, s1
	s_and_saveexec_b32 s1, vcc_lo
	s_cbranch_execz .LBB0_26
; %bb.24:
	v_add_nc_u32_e32 v1, 0x168, v0
	v_mov_b32_e32 v5, 0
	v_lshlrev_b32_e32 v4, 1, v1
	v_lshlrev_b64 v[7:8], 2, v[4:5]
	v_lshlrev_b32_e32 v4, 1, v6
	v_add_co_u32 v7, vcc_lo, s8, v7
	v_add_co_ci_u32_e32 v8, vcc_lo, s9, v8, vcc_lo
	v_add_co_u32 v6, vcc_lo, 0x800, v7
	v_add_co_ci_u32_e32 v7, vcc_lo, 0, v8, vcc_lo
	v_lshlrev_b64 v[8:9], 2, v[4:5]
	v_lshlrev_b32_e32 v4, 1, v0
	global_load_dwordx2 v[34:35], v[6:7], off offset:312
	v_add_co_u32 v6, vcc_lo, s8, v8
	v_add_co_ci_u32_e32 v7, vcc_lo, s9, v9, vcc_lo
	v_lshlrev_b64 v[8:9], 2, v[4:5]
	v_add_co_u32 v6, vcc_lo, 0x800, v6
	v_add_co_ci_u32_e32 v7, vcc_lo, 0, v7, vcc_lo
	v_add_co_u32 v4, vcc_lo, s8, v8
	global_load_dwordx2 v[36:37], v[6:7], off offset:312
	v_add_co_ci_u32_e32 v7, vcc_lo, s9, v9, vcc_lo
	v_add_co_u32 v6, vcc_lo, 0x800, v4
	v_mul_hi_u32 v4, 0x1b4e81b5, v1
	v_add_co_ci_u32_e32 v7, vcc_lo, 0, v7, vcc_lo
	v_mov_b32_e32 v1, v5
	v_add_co_u32 v2, vcc_lo, s2, v2
	global_load_dwordx2 v[38:39], v[6:7], off offset:312
	v_add_co_ci_u32_e32 v3, vcc_lo, s3, v3, vcc_lo
	v_lshlrev_b64 v[6:7], 2, v[0:1]
	v_lshrrev_b32_e32 v1, 6, v4
	v_mul_u32_u24_e32 v4, 0x4b0, v1
	v_add_co_u32 v1, vcc_lo, v2, v6
	v_add_co_ci_u32_e32 v2, vcc_lo, v3, v7, vcc_lo
	v_lshlrev_b64 v[3:4], 2, v[4:5]
	v_add_co_u32 v6, vcc_lo, 0x800, v1
	v_add_co_ci_u32_e32 v7, vcc_lo, 0, v2, vcc_lo
	v_add_co_u32 v3, vcc_lo, v1, v3
	v_add_co_ci_u32_e32 v4, vcc_lo, v2, v4, vcc_lo
	;; [unrolled: 2-line block ×5, first 2 shown]
	s_waitcnt vmcnt(2)
	v_mul_f16_sdwa v44, v23, v34 dst_sel:DWORD dst_unused:UNUSED_PAD src0_sel:DWORD src1_sel:WORD_1
	v_mul_f16_sdwa v45, v24, v35 dst_sel:DWORD dst_unused:UNUSED_PAD src0_sel:DWORD src1_sel:WORD_1
	s_waitcnt lgkmcnt(3)
	v_mul_f16_sdwa v46, v32, v34 dst_sel:DWORD dst_unused:UNUSED_PAD src0_sel:DWORD src1_sel:WORD_1
	s_waitcnt lgkmcnt(0)
	v_mul_f16_sdwa v47, v33, v35 dst_sel:DWORD dst_unused:UNUSED_PAD src0_sel:DWORD src1_sel:WORD_1
	v_fma_f16 v32, v32, v34, -v44
	v_fma_f16 v33, v33, v35, -v45
	v_fmac_f16_e32 v46, v23, v34
	v_fmac_f16_e32 v47, v24, v35
	v_add_f16_e32 v48, v29, v32
	v_add_f16_e32 v44, v32, v33
	v_sub_f16_e32 v32, v32, v33
	v_sub_f16_e32 v45, v46, v47
	v_add_f16_e32 v49, v46, v47
	s_waitcnt vmcnt(1)
	v_mul_f16_sdwa v23, v21, v36 dst_sel:DWORD dst_unused:UNUSED_PAD src0_sel:DWORD src1_sel:WORD_1
	v_mul_f16_sdwa v24, v22, v37 dst_sel:DWORD dst_unused:UNUSED_PAD src0_sel:DWORD src1_sel:WORD_1
	;; [unrolled: 1-line block ×4, first 2 shown]
	v_add_f16_e32 v46, v20, v46
	v_fma_f16 v23, v30, v36, -v23
	v_fma_f16 v24, v31, v37, -v24
	v_fmac_f16_e32 v34, v21, v36
	v_fmac_f16_e32 v35, v22, v37
	v_fma_f16 v29, -0.5, v44, v29
	v_add_f16_e32 v36, v46, v47
	s_waitcnt vmcnt(0)
	v_mul_f16_sdwa v21, v17, v38 dst_sel:DWORD dst_unused:UNUSED_PAD src0_sel:DWORD src1_sel:WORD_1
	v_mul_f16_sdwa v22, v18, v39 dst_sel:DWORD dst_unused:UNUSED_PAD src0_sel:DWORD src1_sel:WORD_1
	;; [unrolled: 1-line block ×4, first 2 shown]
	v_sub_f16_e32 v44, v34, v35
	v_add_f16_e32 v47, v34, v35
	v_add_f16_e32 v34, v16, v34
	v_fma_f16 v21, v27, v38, -v21
	v_fma_f16 v22, v28, v39, -v22
	v_fmac_f16_e32 v30, v17, v38
	v_fmac_f16_e32 v31, v18, v39
	v_fma_f16 v20, -0.5, v49, v20
	v_add_f16_e32 v37, v23, v24
	v_add_f16_e32 v46, v26, v23
	v_sub_f16_e32 v23, v23, v24
	v_fma_f16 v16, -0.5, v47, v16
	v_add_f16_e32 v27, v34, v35
	v_add_f16_e32 v28, v21, v22
	;; [unrolled: 1-line block ×3, first 2 shown]
	v_fmamk_f16 v18, v32, 0x3aee, v20
	v_fmac_f16_e32 v20, 0xbaee, v32
	v_sub_f16_e32 v32, v30, v31
	v_add_f16_e32 v34, v25, v21
	v_add_f16_e32 v30, v15, v30
	;; [unrolled: 1-line block ×3, first 2 shown]
	v_fma_f16 v26, -0.5, v37, v26
	v_fmamk_f16 v17, v45, 0xbaee, v29
	v_add_f16_e32 v24, v46, v24
	v_sub_f16_e32 v21, v21, v22
	v_fmamk_f16 v37, v23, 0x3aee, v16
	v_fmac_f16_e32 v16, 0xbaee, v23
	v_fma_f16 v23, -0.5, v28, v25
	v_fma_f16 v15, -0.5, v35, v15
	v_add_f16_e32 v22, v34, v22
	v_add_f16_e32 v25, v30, v31
	v_pack_b32_f16 v33, v36, v33
	v_fmamk_f16 v36, v44, 0xbaee, v26
	v_fmac_f16_e32 v26, 0x3aee, v44
	v_pack_b32_f16 v24, v27, v24
	v_pack_b32_f16 v17, v18, v17
	v_fmamk_f16 v18, v32, 0xbaee, v23
	v_fmac_f16_e32 v23, 0x3aee, v32
	v_fmamk_f16 v27, v21, 0x3aee, v15
	v_fmac_f16_e32 v15, 0xbaee, v21
	v_fmac_f16_e32 v29, 0x3aee, v45
	v_pack_b32_f16 v21, v25, v22
	v_pack_b32_f16 v16, v16, v26
	;; [unrolled: 1-line block ×6, first 2 shown]
	global_store_dword v[1:2], v24, off offset:720
	global_store_dword v[1:2], v21, off
	global_store_dword v[6:7], v16, off offset:1072
	global_store_dword v[8:9], v22, off offset:1424
	global_store_dword v[6:7], v15, off offset:352
	global_store_dword v[8:9], v18, off offset:704
	global_store_dword v[3:4], v33, off offset:1440
	global_store_dword v[40:41], v20, off offset:1792
	global_store_dword v[42:43], v17, off offset:96
	s_and_b32 exec_lo, exec_lo, s0
	s_cbranch_execz .LBB0_26
; %bb.25:
	v_mov_b32_e32 v3, 0x21c
	v_cndmask_b32_e64 v3, 0xffffffc4, v3, s0
	v_add_lshl_u32 v4, v0, v3, 1
	v_lshlrev_b64 v[3:4], 2, v[4:5]
	v_add_co_u32 v0, vcc_lo, s8, v3
	v_add_co_ci_u32_e32 v4, vcc_lo, s9, v4, vcc_lo
	v_add_co_u32 v3, vcc_lo, 0x800, v0
	v_add_co_ci_u32_e32 v4, vcc_lo, 0, v4, vcc_lo
	global_load_dwordx2 v[3:4], v[3:4], off offset:312
	s_waitcnt vmcnt(0)
	v_mul_f16_sdwa v0, v12, v3 dst_sel:DWORD dst_unused:UNUSED_PAD src0_sel:DWORD src1_sel:WORD_1
	v_mul_f16_sdwa v5, v13, v4 dst_sel:DWORD dst_unused:UNUSED_PAD src0_sel:DWORD src1_sel:WORD_1
	;; [unrolled: 1-line block ×4, first 2 shown]
	v_fmac_f16_e32 v0, v10, v3
	v_fmac_f16_e32 v5, v11, v4
	v_fma_f16 v3, v12, v3, -v15
	v_fma_f16 v4, v13, v4, -v16
	v_add_f16_e32 v11, v14, v0
	v_add_f16_e32 v10, v0, v5
	v_sub_f16_e32 v0, v0, v5
	v_add_f16_e32 v12, v3, v4
	v_sub_f16_e32 v13, v3, v4
	v_add_f16_e32 v3, v19, v3
	v_fmac_f16_e32 v14, -0.5, v10
	v_add_f16_e32 v5, v11, v5
	v_fmac_f16_e32 v19, -0.5, v12
	v_add_f16_e32 v3, v3, v4
	v_fmamk_f16 v4, v13, 0xbaee, v14
	v_fmac_f16_e32 v14, 0x3aee, v13
	v_fmamk_f16 v10, v0, 0x3aee, v19
	v_fmac_f16_e32 v19, 0xbaee, v0
	v_add_co_u32 v0, vcc_lo, 0x1800, v1
	v_add_co_ci_u32_e32 v1, vcc_lo, 0, v2, vcc_lo
	v_pack_b32_f16 v2, v5, v3
	v_pack_b32_f16 v3, v4, v10
	;; [unrolled: 1-line block ×3, first 2 shown]
	global_store_dword v[6:7], v2, off offset:112
	global_store_dword v[8:9], v3, off offset:464
	;; [unrolled: 1-line block ×3, first 2 shown]
.LBB0_26:
	s_endpgm
	.section	.rodata,"a",@progbits
	.p2align	6, 0x0
	.amdhsa_kernel fft_rtc_back_len1800_factors_10_6_10_3_wgs_180_tpt_180_halfLds_half_ip_CI_unitstride_sbrr_dirReg
		.amdhsa_group_segment_fixed_size 0
		.amdhsa_private_segment_fixed_size 0
		.amdhsa_kernarg_size 88
		.amdhsa_user_sgpr_count 6
		.amdhsa_user_sgpr_private_segment_buffer 1
		.amdhsa_user_sgpr_dispatch_ptr 0
		.amdhsa_user_sgpr_queue_ptr 0
		.amdhsa_user_sgpr_kernarg_segment_ptr 1
		.amdhsa_user_sgpr_dispatch_id 0
		.amdhsa_user_sgpr_flat_scratch_init 0
		.amdhsa_user_sgpr_private_segment_size 0
		.amdhsa_wavefront_size32 1
		.amdhsa_uses_dynamic_stack 0
		.amdhsa_system_sgpr_private_segment_wavefront_offset 0
		.amdhsa_system_sgpr_workgroup_id_x 1
		.amdhsa_system_sgpr_workgroup_id_y 0
		.amdhsa_system_sgpr_workgroup_id_z 0
		.amdhsa_system_sgpr_workgroup_info 0
		.amdhsa_system_vgpr_workitem_id 0
		.amdhsa_next_free_vgpr 64
		.amdhsa_next_free_sgpr 21
		.amdhsa_reserve_vcc 1
		.amdhsa_reserve_flat_scratch 0
		.amdhsa_float_round_mode_32 0
		.amdhsa_float_round_mode_16_64 0
		.amdhsa_float_denorm_mode_32 3
		.amdhsa_float_denorm_mode_16_64 3
		.amdhsa_dx10_clamp 1
		.amdhsa_ieee_mode 1
		.amdhsa_fp16_overflow 0
		.amdhsa_workgroup_processor_mode 1
		.amdhsa_memory_ordered 1
		.amdhsa_forward_progress 0
		.amdhsa_shared_vgpr_count 0
		.amdhsa_exception_fp_ieee_invalid_op 0
		.amdhsa_exception_fp_denorm_src 0
		.amdhsa_exception_fp_ieee_div_zero 0
		.amdhsa_exception_fp_ieee_overflow 0
		.amdhsa_exception_fp_ieee_underflow 0
		.amdhsa_exception_fp_ieee_inexact 0
		.amdhsa_exception_int_div_zero 0
	.end_amdhsa_kernel
	.text
.Lfunc_end0:
	.size	fft_rtc_back_len1800_factors_10_6_10_3_wgs_180_tpt_180_halfLds_half_ip_CI_unitstride_sbrr_dirReg, .Lfunc_end0-fft_rtc_back_len1800_factors_10_6_10_3_wgs_180_tpt_180_halfLds_half_ip_CI_unitstride_sbrr_dirReg
                                        ; -- End function
	.section	.AMDGPU.csdata,"",@progbits
; Kernel info:
; codeLenInByte = 7064
; NumSgprs: 23
; NumVgprs: 64
; ScratchSize: 0
; MemoryBound: 0
; FloatMode: 240
; IeeeMode: 1
; LDSByteSize: 0 bytes/workgroup (compile time only)
; SGPRBlocks: 2
; VGPRBlocks: 7
; NumSGPRsForWavesPerEU: 23
; NumVGPRsForWavesPerEU: 64
; Occupancy: 15
; WaveLimiterHint : 1
; COMPUTE_PGM_RSRC2:SCRATCH_EN: 0
; COMPUTE_PGM_RSRC2:USER_SGPR: 6
; COMPUTE_PGM_RSRC2:TRAP_HANDLER: 0
; COMPUTE_PGM_RSRC2:TGID_X_EN: 1
; COMPUTE_PGM_RSRC2:TGID_Y_EN: 0
; COMPUTE_PGM_RSRC2:TGID_Z_EN: 0
; COMPUTE_PGM_RSRC2:TIDIG_COMP_CNT: 0
	.text
	.p2alignl 6, 3214868480
	.fill 48, 4, 3214868480
	.type	__hip_cuid_90e4595a3dcfaa78,@object ; @__hip_cuid_90e4595a3dcfaa78
	.section	.bss,"aw",@nobits
	.globl	__hip_cuid_90e4595a3dcfaa78
__hip_cuid_90e4595a3dcfaa78:
	.byte	0                               ; 0x0
	.size	__hip_cuid_90e4595a3dcfaa78, 1

	.ident	"AMD clang version 19.0.0git (https://github.com/RadeonOpenCompute/llvm-project roc-6.4.0 25133 c7fe45cf4b819c5991fe208aaa96edf142730f1d)"
	.section	".note.GNU-stack","",@progbits
	.addrsig
	.addrsig_sym __hip_cuid_90e4595a3dcfaa78
	.amdgpu_metadata
---
amdhsa.kernels:
  - .args:
      - .actual_access:  read_only
        .address_space:  global
        .offset:         0
        .size:           8
        .value_kind:     global_buffer
      - .offset:         8
        .size:           8
        .value_kind:     by_value
      - .actual_access:  read_only
        .address_space:  global
        .offset:         16
        .size:           8
        .value_kind:     global_buffer
      - .actual_access:  read_only
        .address_space:  global
        .offset:         24
        .size:           8
        .value_kind:     global_buffer
      - .offset:         32
        .size:           8
        .value_kind:     by_value
      - .actual_access:  read_only
        .address_space:  global
        .offset:         40
        .size:           8
        .value_kind:     global_buffer
      - .actual_access:  read_only
        .address_space:  global
        .offset:         48
        .size:           8
        .value_kind:     global_buffer
      - .offset:         56
        .size:           4
        .value_kind:     by_value
      - .actual_access:  read_only
        .address_space:  global
        .offset:         64
        .size:           8
        .value_kind:     global_buffer
      - .actual_access:  read_only
        .address_space:  global
        .offset:         72
        .size:           8
        .value_kind:     global_buffer
      - .address_space:  global
        .offset:         80
        .size:           8
        .value_kind:     global_buffer
    .group_segment_fixed_size: 0
    .kernarg_segment_align: 8
    .kernarg_segment_size: 88
    .language:       OpenCL C
    .language_version:
      - 2
      - 0
    .max_flat_workgroup_size: 180
    .name:           fft_rtc_back_len1800_factors_10_6_10_3_wgs_180_tpt_180_halfLds_half_ip_CI_unitstride_sbrr_dirReg
    .private_segment_fixed_size: 0
    .sgpr_count:     23
    .sgpr_spill_count: 0
    .symbol:         fft_rtc_back_len1800_factors_10_6_10_3_wgs_180_tpt_180_halfLds_half_ip_CI_unitstride_sbrr_dirReg.kd
    .uniform_work_group_size: 1
    .uses_dynamic_stack: false
    .vgpr_count:     64
    .vgpr_spill_count: 0
    .wavefront_size: 32
    .workgroup_processor_mode: 1
amdhsa.target:   amdgcn-amd-amdhsa--gfx1030
amdhsa.version:
  - 1
  - 2
...

	.end_amdgpu_metadata
